;; amdgpu-corpus repo=ROCm/rocFFT kind=compiled arch=gfx906 opt=O3
	.text
	.amdgcn_target "amdgcn-amd-amdhsa--gfx906"
	.amdhsa_code_object_version 6
	.protected	fft_rtc_fwd_len2187_factors_3_3_3_3_3_3_3_wgs_243_tpt_243_halfLds_dp_ip_CI_unitstride_sbrr_dirReg ; -- Begin function fft_rtc_fwd_len2187_factors_3_3_3_3_3_3_3_wgs_243_tpt_243_halfLds_dp_ip_CI_unitstride_sbrr_dirReg
	.globl	fft_rtc_fwd_len2187_factors_3_3_3_3_3_3_3_wgs_243_tpt_243_halfLds_dp_ip_CI_unitstride_sbrr_dirReg
	.p2align	8
	.type	fft_rtc_fwd_len2187_factors_3_3_3_3_3_3_3_wgs_243_tpt_243_halfLds_dp_ip_CI_unitstride_sbrr_dirReg,@function
fft_rtc_fwd_len2187_factors_3_3_3_3_3_3_3_wgs_243_tpt_243_halfLds_dp_ip_CI_unitstride_sbrr_dirReg: ; @fft_rtc_fwd_len2187_factors_3_3_3_3_3_3_3_wgs_243_tpt_243_halfLds_dp_ip_CI_unitstride_sbrr_dirReg
; %bb.0:
	s_load_dwordx2 s[2:3], s[4:5], 0x50
	s_load_dwordx4 s[8:11], s[4:5], 0x0
	s_load_dwordx2 s[12:13], s[4:5], 0x18
	v_mul_u32_u24_e32 v1, 0x10e, v0
	v_add_u32_sdwa v5, s6, v1 dst_sel:DWORD dst_unused:UNUSED_PAD src0_sel:DWORD src1_sel:WORD_1
	v_mov_b32_e32 v3, 0
	s_waitcnt lgkmcnt(0)
	v_cmp_lt_u64_e64 s[0:1], s[10:11], 2
	v_mov_b32_e32 v1, 0
	v_mov_b32_e32 v6, v3
	s_and_b64 vcc, exec, s[0:1]
	v_mov_b32_e32 v2, 0
	s_cbranch_vccnz .LBB0_8
; %bb.1:
	s_load_dwordx2 s[0:1], s[4:5], 0x10
	s_add_u32 s6, s12, 8
	s_addc_u32 s7, s13, 0
	v_mov_b32_e32 v1, 0
	v_mov_b32_e32 v2, 0
	s_waitcnt lgkmcnt(0)
	s_add_u32 s14, s0, 8
	s_addc_u32 s15, s1, 0
	s_mov_b64 s[16:17], 1
.LBB0_2:                                ; =>This Inner Loop Header: Depth=1
	s_load_dwordx2 s[18:19], s[14:15], 0x0
                                        ; implicit-def: $vgpr7_vgpr8
	s_waitcnt lgkmcnt(0)
	v_or_b32_e32 v4, s19, v6
	v_cmp_ne_u64_e32 vcc, 0, v[3:4]
	s_and_saveexec_b64 s[0:1], vcc
	s_xor_b64 s[20:21], exec, s[0:1]
	s_cbranch_execz .LBB0_4
; %bb.3:                                ;   in Loop: Header=BB0_2 Depth=1
	v_cvt_f32_u32_e32 v4, s18
	v_cvt_f32_u32_e32 v7, s19
	s_sub_u32 s0, 0, s18
	s_subb_u32 s1, 0, s19
	v_mac_f32_e32 v4, 0x4f800000, v7
	v_rcp_f32_e32 v4, v4
	v_mul_f32_e32 v4, 0x5f7ffffc, v4
	v_mul_f32_e32 v7, 0x2f800000, v4
	v_trunc_f32_e32 v7, v7
	v_mac_f32_e32 v4, 0xcf800000, v7
	v_cvt_u32_f32_e32 v7, v7
	v_cvt_u32_f32_e32 v4, v4
	v_mul_lo_u32 v8, s0, v7
	v_mul_hi_u32 v9, s0, v4
	v_mul_lo_u32 v11, s1, v4
	v_mul_lo_u32 v10, s0, v4
	v_add_u32_e32 v8, v9, v8
	v_add_u32_e32 v8, v8, v11
	v_mul_hi_u32 v9, v4, v10
	v_mul_lo_u32 v11, v4, v8
	v_mul_hi_u32 v13, v4, v8
	v_mul_hi_u32 v12, v7, v10
	v_mul_lo_u32 v10, v7, v10
	v_mul_hi_u32 v14, v7, v8
	v_add_co_u32_e32 v9, vcc, v9, v11
	v_addc_co_u32_e32 v11, vcc, 0, v13, vcc
	v_mul_lo_u32 v8, v7, v8
	v_add_co_u32_e32 v9, vcc, v9, v10
	v_addc_co_u32_e32 v9, vcc, v11, v12, vcc
	v_addc_co_u32_e32 v10, vcc, 0, v14, vcc
	v_add_co_u32_e32 v8, vcc, v9, v8
	v_addc_co_u32_e32 v9, vcc, 0, v10, vcc
	v_add_co_u32_e32 v4, vcc, v4, v8
	v_addc_co_u32_e32 v7, vcc, v7, v9, vcc
	v_mul_lo_u32 v8, s0, v7
	v_mul_hi_u32 v9, s0, v4
	v_mul_lo_u32 v10, s1, v4
	v_mul_lo_u32 v11, s0, v4
	v_add_u32_e32 v8, v9, v8
	v_add_u32_e32 v8, v8, v10
	v_mul_lo_u32 v12, v4, v8
	v_mul_hi_u32 v13, v4, v11
	v_mul_hi_u32 v14, v4, v8
	;; [unrolled: 1-line block ×3, first 2 shown]
	v_mul_lo_u32 v11, v7, v11
	v_mul_hi_u32 v9, v7, v8
	v_add_co_u32_e32 v12, vcc, v13, v12
	v_addc_co_u32_e32 v13, vcc, 0, v14, vcc
	v_mul_lo_u32 v8, v7, v8
	v_add_co_u32_e32 v11, vcc, v12, v11
	v_addc_co_u32_e32 v10, vcc, v13, v10, vcc
	v_addc_co_u32_e32 v9, vcc, 0, v9, vcc
	v_add_co_u32_e32 v8, vcc, v10, v8
	v_addc_co_u32_e32 v9, vcc, 0, v9, vcc
	v_add_co_u32_e32 v4, vcc, v4, v8
	v_addc_co_u32_e32 v9, vcc, v7, v9, vcc
	v_mad_u64_u32 v[7:8], s[0:1], v5, v9, 0
	v_mul_hi_u32 v10, v5, v4
	v_add_co_u32_e32 v11, vcc, v10, v7
	v_addc_co_u32_e32 v12, vcc, 0, v8, vcc
	v_mad_u64_u32 v[7:8], s[0:1], v6, v4, 0
	v_mad_u64_u32 v[9:10], s[0:1], v6, v9, 0
	v_add_co_u32_e32 v4, vcc, v11, v7
	v_addc_co_u32_e32 v4, vcc, v12, v8, vcc
	v_addc_co_u32_e32 v7, vcc, 0, v10, vcc
	v_add_co_u32_e32 v4, vcc, v4, v9
	v_addc_co_u32_e32 v9, vcc, 0, v7, vcc
	v_mul_lo_u32 v10, s19, v4
	v_mul_lo_u32 v11, s18, v9
	v_mad_u64_u32 v[7:8], s[0:1], s18, v4, 0
	v_add3_u32 v8, v8, v11, v10
	v_sub_u32_e32 v10, v6, v8
	v_mov_b32_e32 v11, s19
	v_sub_co_u32_e32 v7, vcc, v5, v7
	v_subb_co_u32_e64 v10, s[0:1], v10, v11, vcc
	v_subrev_co_u32_e64 v11, s[0:1], s18, v7
	v_subbrev_co_u32_e64 v10, s[0:1], 0, v10, s[0:1]
	v_cmp_le_u32_e64 s[0:1], s19, v10
	v_cndmask_b32_e64 v12, 0, -1, s[0:1]
	v_cmp_le_u32_e64 s[0:1], s18, v11
	v_cndmask_b32_e64 v11, 0, -1, s[0:1]
	v_cmp_eq_u32_e64 s[0:1], s19, v10
	v_cndmask_b32_e64 v10, v12, v11, s[0:1]
	v_add_co_u32_e64 v11, s[0:1], 2, v4
	v_addc_co_u32_e64 v12, s[0:1], 0, v9, s[0:1]
	v_add_co_u32_e64 v13, s[0:1], 1, v4
	v_addc_co_u32_e64 v14, s[0:1], 0, v9, s[0:1]
	v_subb_co_u32_e32 v8, vcc, v6, v8, vcc
	v_cmp_ne_u32_e64 s[0:1], 0, v10
	v_cmp_le_u32_e32 vcc, s19, v8
	v_cndmask_b32_e64 v10, v14, v12, s[0:1]
	v_cndmask_b32_e64 v12, 0, -1, vcc
	v_cmp_le_u32_e32 vcc, s18, v7
	v_cndmask_b32_e64 v7, 0, -1, vcc
	v_cmp_eq_u32_e32 vcc, s19, v8
	v_cndmask_b32_e32 v7, v12, v7, vcc
	v_cmp_ne_u32_e32 vcc, 0, v7
	v_cndmask_b32_e64 v7, v13, v11, s[0:1]
	v_cndmask_b32_e32 v8, v9, v10, vcc
	v_cndmask_b32_e32 v7, v4, v7, vcc
.LBB0_4:                                ;   in Loop: Header=BB0_2 Depth=1
	s_andn2_saveexec_b64 s[0:1], s[20:21]
	s_cbranch_execz .LBB0_6
; %bb.5:                                ;   in Loop: Header=BB0_2 Depth=1
	v_cvt_f32_u32_e32 v4, s18
	s_sub_i32 s20, 0, s18
	v_rcp_iflag_f32_e32 v4, v4
	v_mul_f32_e32 v4, 0x4f7ffffe, v4
	v_cvt_u32_f32_e32 v4, v4
	v_mul_lo_u32 v7, s20, v4
	v_mul_hi_u32 v7, v4, v7
	v_add_u32_e32 v4, v4, v7
	v_mul_hi_u32 v4, v5, v4
	v_mul_lo_u32 v7, v4, s18
	v_add_u32_e32 v8, 1, v4
	v_sub_u32_e32 v7, v5, v7
	v_subrev_u32_e32 v9, s18, v7
	v_cmp_le_u32_e32 vcc, s18, v7
	v_cndmask_b32_e32 v7, v7, v9, vcc
	v_cndmask_b32_e32 v4, v4, v8, vcc
	v_add_u32_e32 v8, 1, v4
	v_cmp_le_u32_e32 vcc, s18, v7
	v_cndmask_b32_e32 v7, v4, v8, vcc
	v_mov_b32_e32 v8, v3
.LBB0_6:                                ;   in Loop: Header=BB0_2 Depth=1
	s_or_b64 exec, exec, s[0:1]
	v_mul_lo_u32 v4, v8, s18
	v_mul_lo_u32 v11, v7, s19
	v_mad_u64_u32 v[9:10], s[0:1], v7, s18, 0
	s_load_dwordx2 s[0:1], s[6:7], 0x0
	s_add_u32 s16, s16, 1
	v_add3_u32 v4, v10, v11, v4
	v_sub_co_u32_e32 v5, vcc, v5, v9
	v_subb_co_u32_e32 v4, vcc, v6, v4, vcc
	s_waitcnt lgkmcnt(0)
	v_mul_lo_u32 v4, s0, v4
	v_mul_lo_u32 v6, s1, v5
	v_mad_u64_u32 v[1:2], s[0:1], s0, v5, v[1:2]
	s_addc_u32 s17, s17, 0
	s_add_u32 s6, s6, 8
	v_add3_u32 v2, v6, v2, v4
	v_mov_b32_e32 v4, s10
	v_mov_b32_e32 v5, s11
	s_addc_u32 s7, s7, 0
	v_cmp_ge_u64_e32 vcc, s[16:17], v[4:5]
	s_add_u32 s14, s14, 8
	s_addc_u32 s15, s15, 0
	s_cbranch_vccnz .LBB0_9
; %bb.7:                                ;   in Loop: Header=BB0_2 Depth=1
	v_mov_b32_e32 v5, v7
	v_mov_b32_e32 v6, v8
	s_branch .LBB0_2
.LBB0_8:
	v_mov_b32_e32 v8, v6
	v_mov_b32_e32 v7, v5
.LBB0_9:
	s_lshl_b64 s[0:1], s[10:11], 3
	s_add_u32 s0, s12, s0
	s_addc_u32 s1, s13, s1
	s_load_dwordx2 s[6:7], s[0:1], 0x0
	s_load_dwordx2 s[10:11], s[4:5], 0x20
                                        ; implicit-def: $vgpr14_vgpr15
                                        ; implicit-def: $vgpr30_vgpr31
                                        ; implicit-def: $vgpr34_vgpr35
                                        ; implicit-def: $vgpr26_vgpr27
                                        ; implicit-def: $vgpr10_vgpr11
                                        ; implicit-def: $vgpr18_vgpr19
                                        ; implicit-def: $vgpr22_vgpr23
	s_waitcnt lgkmcnt(0)
	v_mad_u64_u32 v[1:2], s[0:1], s6, v7, v[1:2]
	v_mul_lo_u32 v3, s6, v8
	v_mul_lo_u32 v4, s7, v7
	s_mov_b32 s0, 0x10db20b
	v_mul_hi_u32 v5, v0, s0
	v_cmp_gt_u64_e64 s[0:1], s[10:11], v[7:8]
	v_add3_u32 v2, v4, v2, v3
	v_lshlrev_b64 v[38:39], 4, v[1:2]
	v_mul_u32_u24_e32 v3, 0xf3, v5
	v_sub_u32_e32 v36, v0, v3
                                        ; implicit-def: $vgpr2_vgpr3
                                        ; implicit-def: $vgpr6_vgpr7
	s_and_saveexec_b64 s[4:5], s[0:1]
	s_cbranch_execz .LBB0_11
; %bb.10:
	v_mov_b32_e32 v37, 0
	v_mov_b32_e32 v0, s3
	v_add_co_u32_e32 v2, vcc, s2, v38
	v_addc_co_u32_e32 v3, vcc, v0, v39, vcc
	v_lshlrev_b64 v[0:1], 4, v[36:37]
	s_movk_i32 s6, 0x2000
	v_add_co_u32_e32 v40, vcc, v2, v0
	v_addc_co_u32_e32 v41, vcc, v3, v1, vcc
	v_add_co_u32_e32 v42, vcc, s6, v40
	v_addc_co_u32_e32 v43, vcc, 0, v41, vcc
	s_movk_i32 s6, 0x5000
	v_add_co_u32_e32 v44, vcc, s6, v40
	v_addc_co_u32_e32 v45, vcc, 0, v41, vcc
	s_movk_i32 s6, 0x3000
	;; [unrolled: 3-line block ×5, first 2 shown]
	v_add_co_u32_e32 v52, vcc, s6, v40
	v_addc_co_u32_e32 v53, vcc, 0, v41, vcc
	v_add_co_u32_e32 v54, vcc, 0x7000, v40
	v_addc_co_u32_e32 v55, vcc, 0, v41, vcc
	global_load_dwordx4 v[16:19], v[42:43], off offset:3472
	global_load_dwordx4 v[8:11], v[44:45], off offset:2848
	global_load_dwordx4 v[20:23], v[40:41], off
	global_load_dwordx4 v[24:27], v[40:41], off offset:3888
	global_load_dwordx4 v[32:35], v[46:47], off offset:3264
	;; [unrolled: 1-line block ×6, first 2 shown]
.LBB0_11:
	s_or_b64 exec, exec, s[4:5]
	s_waitcnt vmcnt(3)
	v_add_f64 v[44:45], v[28:29], v[32:33]
	v_add_f64 v[40:41], v[32:33], v[24:25]
	;; [unrolled: 1-line block ×5, first 2 shown]
	v_add_f64 v[50:51], v[32:33], -v[28:29]
	s_waitcnt vmcnt(0)
	v_add_f64 v[32:33], v[0:1], v[4:5]
	v_add_f64 v[34:35], v[34:35], -v[30:31]
	v_fma_f64 v[24:25], v[44:45], -0.5, v[24:25]
	v_add_f64 v[28:29], v[28:29], v[40:41]
	v_add_f64 v[52:53], v[30:31], v[42:43]
	;; [unrolled: 1-line block ×3, first 2 shown]
	v_fma_f64 v[44:45], v[46:47], -0.5, v[26:27]
	v_fma_f64 v[20:21], v[48:49], -0.5, v[20:21]
	v_add_f64 v[26:27], v[18:19], -v[10:11]
	v_fma_f64 v[32:33], v[32:33], -0.5, v[12:13]
	v_add_f64 v[12:13], v[4:5], v[12:13]
	v_add_f64 v[40:41], v[6:7], -v[2:3]
	s_mov_b32 s4, 0xe8584caa
	s_mov_b32 s5, 0x3febb67a
	v_fma_f64 v[46:47], v[34:35], s[4:5], v[24:25]
	v_add_f64 v[30:31], v[8:9], v[30:31]
	v_fma_f64 v[42:43], v[26:27], s[4:5], v[20:21]
	s_mov_b32 s7, 0xbfebb67a
	v_add_f64 v[12:13], v[0:1], v[12:13]
	v_fma_f64 v[48:49], v[40:41], s[4:5], v[32:33]
	s_mov_b32 s6, s4
	v_fma_f64 v[20:21], v[26:27], s[6:7], v[20:21]
	v_fma_f64 v[24:25], v[34:35], s[6:7], v[24:25]
	;; [unrolled: 1-line block ×3, first 2 shown]
	v_mad_u32_u24 v37, v36, 24, 0
	v_add_u32_e32 v54, 0x16c8, v37
	ds_write2_b64 v54, v[28:29], v[46:47] offset1:1
	v_add_u32_e32 v46, 0x2d90, v37
	ds_write2_b64 v37, v[30:31], v[42:43] offset1:1
	ds_write2_b64 v46, v[12:13], v[48:49] offset1:1
	ds_write_b64 v37, v[20:21] offset:16
	ds_write_b64 v37, v[24:25] offset:5848
	;; [unrolled: 1-line block ×3, first 2 shown]
	v_lshlrev_b32_e32 v12, 4, v36
	v_sub_u32_e32 v24, v37, v12
	v_add_f64 v[12:13], v[10:11], v[18:19]
	v_add_f64 v[20:21], v[2:3], v[6:7]
	;; [unrolled: 1-line block ×3, first 2 shown]
	v_add_f64 v[16:17], v[16:17], -v[8:9]
	v_add_f64 v[0:1], v[4:5], -v[0:1]
	v_fma_f64 v[4:5], v[50:51], s[6:7], v[44:45]
	v_add_u32_e32 v25, 0xf00, v24
	v_add_u32_e32 v26, 0x1e00, v24
	v_fma_f64 v[12:13], v[12:13], -0.5, v[22:23]
	v_add_f64 v[22:23], v[6:7], v[14:15]
	v_fma_f64 v[14:15], v[20:21], -0.5, v[14:15]
	v_add_f64 v[10:11], v[10:11], v[18:19]
	s_movk_i32 s10, 0xab
	s_waitcnt lgkmcnt(0)
	s_barrier
	v_fma_f64 v[18:19], v[16:17], s[6:7], v[12:13]
	v_fma_f64 v[12:13], v[16:17], s[4:5], v[12:13]
	;; [unrolled: 1-line block ×3, first 2 shown]
	v_add_f64 v[2:3], v[2:3], v[22:23]
	v_fma_f64 v[20:21], v[0:1], s[6:7], v[14:15]
	v_fma_f64 v[0:1], v[0:1], s[4:5], v[14:15]
	v_add_u32_e32 v27, 0x2d80, v24
	ds_read_b64 v[48:49], v24 offset:15552
	ds_read2_b64 v[28:31], v24 offset1:243
	ds_read2_b64 v[32:35], v25 offset0:6 offset1:249
	ds_read2_b64 v[40:43], v27 offset0:2 offset1:245
	ds_read2_b64 v[6:9], v26 offset0:12 offset1:255
	s_waitcnt lgkmcnt(0)
	s_barrier
	ds_write2_b64 v54, v[52:53], v[4:5] offset1:1
	ds_write2_b64 v37, v[10:11], v[18:19] offset1:1
	ds_write_b64 v37, v[12:13] offset:16
	ds_write_b64 v37, v[16:17] offset:5848
	ds_write2_b64 v46, v[2:3], v[20:21] offset1:1
	ds_write_b64 v37, v[0:1] offset:11680
	v_mul_lo_u16_sdwa v0, v36, s10 dst_sel:DWORD dst_unused:UNUSED_PAD src0_sel:BYTE_0 src1_sel:DWORD
	v_lshrrev_b16_e32 v37, 9, v0
	v_mul_lo_u16_e32 v0, 3, v37
	v_sub_u16_e32 v58, v36, v0
	v_mov_b32_e32 v0, 5
	v_add_u32_e32 v23, 0xf3, v36
	s_mov_b32 s10, 0xaaab
	v_lshlrev_b32_sdwa v5, v0, v58 dst_sel:DWORD dst_unused:UNUSED_PAD src0_sel:DWORD src1_sel:BYTE_0
	v_mul_u32_u24_sdwa v10, v23, s10 dst_sel:DWORD dst_unused:UNUSED_PAD src0_sel:WORD_0 src1_sel:DWORD
	s_waitcnt lgkmcnt(0)
	s_barrier
	global_load_dwordx4 v[1:4], v5, s[8:9] offset:16
	v_lshrrev_b32_e32 v59, 17, v10
	v_mul_lo_u16_e32 v10, 3, v59
	v_sub_u16_e32 v60, v23, v10
	v_lshlrev_b32_e32 v18, 5, v60
	global_load_dwordx4 v[10:13], v18, s[8:9] offset:16
	global_load_dwordx4 v[14:17], v18, s[8:9]
	ds_read2_b64 v[18:21], v27 offset0:2 offset1:245
	v_add_u32_e32 v22, 0x1e6, v36
	global_load_dwordx4 v[44:47], v5, s[8:9]
	v_mul_u32_u24_sdwa v5, v22, s10 dst_sel:DWORD dst_unused:UNUSED_PAD src0_sel:WORD_0 src1_sel:DWORD
	v_lshrrev_b32_e32 v61, 17, v5
	s_mov_b32 s10, 0xe38f
	s_waitcnt vmcnt(3) lgkmcnt(0)
	v_mul_f64 v[50:51], v[18:19], v[3:4]
	v_mul_f64 v[3:4], v[40:41], v[3:4]
	s_waitcnt vmcnt(2)
	v_mul_f64 v[52:53], v[20:21], v[12:13]
	v_mul_f64 v[12:13], v[42:43], v[12:13]
	v_fma_f64 v[40:41], v[40:41], v[1:2], -v[50:51]
	v_fma_f64 v[18:19], v[18:19], v[1:2], v[3:4]
	v_mul_lo_u16_e32 v1, 3, v61
	v_sub_u16_e32 v62, v22, v1
	v_lshlrev_b32_e32 v5, 5, v62
	v_fma_f64 v[42:43], v[42:43], v[10:11], -v[52:53]
	global_load_dwordx4 v[1:4], v5, s[8:9]
	v_fma_f64 v[20:21], v[20:21], v[10:11], v[12:13]
	ds_read2_b64 v[10:13], v26 offset0:12 offset1:255
	s_waitcnt vmcnt(2) lgkmcnt(0)
	v_mul_f64 v[50:51], v[10:11], v[16:17]
	v_mul_f64 v[16:17], v[6:7], v[16:17]
	v_fma_f64 v[50:51], v[6:7], v[14:15], -v[50:51]
	v_fma_f64 v[10:11], v[10:11], v[14:15], v[16:17]
	global_load_dwordx4 v[14:17], v5, s[8:9] offset:16
	s_waitcnt vmcnt(1)
	v_mul_f64 v[5:6], v[12:13], v[3:4]
	v_mul_f64 v[3:4], v[8:9], v[3:4]
	v_fma_f64 v[52:53], v[8:9], v[1:2], -v[5:6]
	ds_read_b64 v[6:7], v24 offset:15552
	v_fma_f64 v[8:9], v[12:13], v[1:2], v[3:4]
	ds_read2_b64 v[2:5], v25 offset0:6 offset1:249
	v_mov_b32_e32 v1, 3
	s_waitcnt lgkmcnt(0)
	v_mul_f64 v[54:55], v[4:5], v[46:47]
	s_waitcnt vmcnt(0)
	v_mul_f64 v[12:13], v[6:7], v[16:17]
	v_fma_f64 v[56:57], v[48:49], v[14:15], -v[12:13]
	v_mul_f64 v[12:13], v[48:49], v[16:17]
	v_fma_f64 v[16:17], v[34:35], v[44:45], -v[54:55]
	v_add_f64 v[54:55], v[2:3], v[8:9]
	v_fma_f64 v[48:49], v[6:7], v[14:15], v[12:13]
	v_mul_f64 v[6:7], v[34:35], v[46:47]
	v_add_f64 v[14:15], v[16:17], v[40:41]
	v_add_f64 v[12:13], v[28:29], v[16:17]
	v_fma_f64 v[34:35], v[4:5], v[44:45], v[6:7]
	v_fma_f64 v[14:15], v[14:15], -0.5, v[28:29]
	v_add_f64 v[12:13], v[12:13], v[40:41]
	v_mul_u32_u24_e32 v4, 0x48, v37
	v_lshlrev_b32_sdwa v5, v1, v58 dst_sel:DWORD dst_unused:UNUSED_PAD src0_sel:DWORD src1_sel:BYTE_0
	v_add3_u32 v37, 0, v4, v5
	ds_read2_b64 v[4:7], v24 offset1:243
	s_waitcnt lgkmcnt(0)
	v_add_f64 v[28:29], v[34:35], -v[18:19]
	s_barrier
	v_add_f64 v[46:47], v[6:7], v[10:11]
	v_fma_f64 v[44:45], v[28:29], s[4:5], v[14:15]
	ds_write2_b64 v37, v[12:13], v[44:45] offset1:3
	v_fma_f64 v[12:13], v[28:29], s[6:7], v[14:15]
	v_add_f64 v[14:15], v[50:51], v[42:43]
	v_add_f64 v[28:29], v[30:31], v[50:51]
	ds_write_b64 v37, v[12:13] offset:48
	v_fma_f64 v[14:15], v[14:15], -0.5, v[30:31]
	v_add_f64 v[30:31], v[34:35], v[18:19]
	v_add_f64 v[34:35], v[4:5], v[34:35]
	v_fma_f64 v[30:31], v[30:31], -0.5, v[4:5]
	v_add_f64 v[4:5], v[10:11], v[20:21]
	v_add_f64 v[18:19], v[34:35], v[18:19]
	v_add_f64 v[34:35], v[50:51], -v[42:43]
	v_fma_f64 v[44:45], v[4:5], -0.5, v[6:7]
	v_add_f64 v[4:5], v[10:11], -v[20:21]
	v_add_f64 v[6:7], v[52:53], v[56:57]
	v_mul_u32_u24_e32 v10, 0x48, v59
	v_lshlrev_b32_e32 v11, 3, v60
	v_add3_u32 v60, 0, v10, v11
	v_add_f64 v[10:11], v[28:29], v[42:43]
	v_add_f64 v[28:29], v[8:9], -v[48:49]
	v_add_f64 v[20:21], v[46:47], v[20:21]
	v_fma_f64 v[12:13], v[4:5], s[4:5], v[14:15]
	v_fma_f64 v[4:5], v[4:5], s[6:7], v[14:15]
	v_fma_f64 v[6:7], v[6:7], -0.5, v[32:33]
	v_add_f64 v[14:15], v[32:33], v[52:53]
	v_add_f64 v[32:33], v[8:9], v[48:49]
	ds_write2_b64 v60, v[10:11], v[12:13] offset1:3
	ds_write_b64 v60, v[4:5] offset:48
	v_fma_f64 v[12:13], v[28:29], s[4:5], v[6:7]
	v_add_f64 v[10:11], v[14:15], v[56:57]
	v_fma_f64 v[32:33], v[32:33], -0.5, v[2:3]
	v_fma_f64 v[2:3], v[28:29], s[6:7], v[6:7]
	v_add_f64 v[28:29], v[16:17], -v[40:41]
	v_add_f64 v[40:41], v[52:53], -v[56:57]
	v_mul_u32_u24_e32 v4, 0x48, v61
	v_lshlrev_b32_e32 v5, 3, v62
	v_add3_u32 v61, 0, v4, v5
	ds_write2_b64 v61, v[10:11], v[12:13] offset1:3
	ds_write_b64 v61, v[2:3] offset:48
	v_fma_f64 v[42:43], v[28:29], s[6:7], v[30:31]
	v_fma_f64 v[28:29], v[28:29], s[4:5], v[30:31]
	v_fma_f64 v[30:31], v[34:35], s[6:7], v[44:45]
	v_fma_f64 v[34:35], v[34:35], s[4:5], v[44:45]
	v_add_f64 v[44:45], v[54:55], v[48:49]
	v_fma_f64 v[46:47], v[40:41], s[6:7], v[32:33]
	v_fma_f64 v[32:33], v[40:41], s[4:5], v[32:33]
	s_waitcnt lgkmcnt(0)
	s_barrier
	ds_read_b64 v[58:59], v24 offset:15552
	ds_read2_b64 v[2:5], v24 offset1:243
	ds_read2_b64 v[6:9], v25 offset0:6 offset1:249
	ds_read2_b64 v[10:13], v27 offset0:2 offset1:245
	;; [unrolled: 1-line block ×3, first 2 shown]
	s_waitcnt lgkmcnt(0)
	s_barrier
	ds_write2_b64 v37, v[18:19], v[42:43] offset1:3
	ds_write_b64 v37, v[28:29] offset:48
	ds_write2_b64 v60, v[20:21], v[30:31] offset1:3
	ds_write_b64 v60, v[34:35] offset:48
	;; [unrolled: 2-line block ×3, first 2 shown]
	v_mov_b32_e32 v18, 57
	v_mul_lo_u16_sdwa v18, v36, v18 dst_sel:DWORD dst_unused:UNUSED_PAD src0_sel:BYTE_0 src1_sel:DWORD
	v_lshrrev_b16_e32 v37, 9, v18
	v_mul_lo_u16_e32 v18, 9, v37
	v_sub_u16_e32 v54, v36, v18
	v_lshlrev_b32_sdwa v44, v0, v54 dst_sel:DWORD dst_unused:UNUSED_PAD src0_sel:DWORD src1_sel:BYTE_0
	s_waitcnt lgkmcnt(0)
	s_barrier
	global_load_dwordx4 v[18:21], v44, s[8:9] offset:112
	v_mul_u32_u24_sdwa v28, v23, s10 dst_sel:DWORD dst_unused:UNUSED_PAD src0_sel:WORD_0 src1_sel:DWORD
	v_lshrrev_b32_e32 v56, 19, v28
	v_mul_lo_u16_e32 v28, 9, v56
	v_sub_u16_e32 v57, v23, v28
	v_lshlrev_b32_e32 v40, 5, v57
	global_load_dwordx4 v[28:31], v40, s[8:9] offset:112
	global_load_dwordx4 v[32:35], v40, s[8:9] offset:96
	ds_read2_b64 v[40:43], v27 offset0:2 offset1:245
	global_load_dwordx4 v[44:47], v44, s[8:9] offset:96
	s_waitcnt vmcnt(3) lgkmcnt(0)
	v_mul_f64 v[48:49], v[40:41], v[20:21]
	v_mul_f64 v[20:21], v[10:11], v[20:21]
	s_waitcnt vmcnt(2)
	v_mul_f64 v[50:51], v[42:43], v[30:31]
	v_fma_f64 v[48:49], v[10:11], v[18:19], -v[48:49]
	v_mul_u32_u24_sdwa v10, v22, s10 dst_sel:DWORD dst_unused:UNUSED_PAD src0_sel:WORD_0 src1_sel:DWORD
	v_lshrrev_b32_e32 v60, 19, v10
	v_mul_lo_u16_e32 v10, 9, v60
	v_sub_u16_e32 v61, v22, v10
	v_lshlrev_b32_e32 v52, 5, v61
	v_fma_f64 v[40:41], v[40:41], v[18:19], v[20:21]
	v_fma_f64 v[50:51], v[12:13], v[28:29], -v[50:51]
	v_mul_f64 v[18:19], v[12:13], v[30:31]
	global_load_dwordx4 v[10:13], v52, s[8:9] offset:96
	s_waitcnt vmcnt(2)
	v_mul_f64 v[30:31], v[14:15], v[34:35]
	s_movk_i32 s10, 0x2f69
	v_fma_f64 v[42:43], v[42:43], v[28:29], v[18:19]
	ds_read2_b64 v[18:21], v26 offset0:12 offset1:255
	s_waitcnt lgkmcnt(0)
	v_mul_f64 v[28:29], v[18:19], v[34:35]
	v_fma_f64 v[18:19], v[18:19], v[32:33], v[30:31]
	v_fma_f64 v[34:35], v[14:15], v[32:33], -v[28:29]
	global_load_dwordx4 v[28:31], v52, s[8:9] offset:112
	s_waitcnt vmcnt(1)
	v_mul_f64 v[14:15], v[20:21], v[12:13]
	v_mul_f64 v[12:13], v[16:17], v[12:13]
	v_fma_f64 v[32:33], v[16:17], v[10:11], -v[14:15]
	v_fma_f64 v[16:17], v[20:21], v[10:11], v[12:13]
	ds_read2_b64 v[10:13], v25 offset0:6 offset1:249
	ds_read_b64 v[14:15], v24 offset:15552
	s_waitcnt lgkmcnt(1)
	v_mul_f64 v[52:53], v[12:13], v[46:47]
	s_waitcnt vmcnt(0) lgkmcnt(0)
	v_mul_f64 v[20:21], v[14:15], v[30:31]
	v_mul_f64 v[30:31], v[58:59], v[30:31]
	v_fma_f64 v[52:53], v[8:9], v[44:45], -v[52:53]
	v_mul_f64 v[8:9], v[8:9], v[46:47]
	v_fma_f64 v[20:21], v[58:59], v[28:29], -v[20:21]
	v_fma_f64 v[28:29], v[14:15], v[28:29], v[30:31]
	v_add_f64 v[30:31], v[52:53], v[48:49]
	v_fma_f64 v[8:9], v[12:13], v[44:45], v[8:9]
	v_add_f64 v[14:15], v[2:3], v[52:53]
	v_mul_u32_u24_e32 v12, 0xd8, v37
	v_lshlrev_b32_sdwa v13, v1, v54 dst_sel:DWORD dst_unused:UNUSED_PAD src0_sel:DWORD src1_sel:BYTE_0
	v_add3_u32 v37, 0, v12, v13
	v_fma_f64 v[2:3], v[30:31], -0.5, v[2:3]
	v_add_f64 v[30:31], v[8:9], -v[40:41]
	v_add_f64 v[44:45], v[14:15], v[48:49]
	ds_read2_b64 v[12:15], v24 offset1:243
	s_waitcnt lgkmcnt(0)
	s_barrier
	v_add_f64 v[54:55], v[14:15], v[18:19]
	v_fma_f64 v[46:47], v[30:31], s[4:5], v[2:3]
	v_fma_f64 v[2:3], v[30:31], s[6:7], v[2:3]
	v_add_f64 v[30:31], v[34:35], v[50:51]
	ds_write2_b64 v37, v[44:45], v[46:47] offset1:9
	v_add_f64 v[44:45], v[8:9], v[40:41]
	v_add_f64 v[8:9], v[12:13], v[8:9]
	v_fma_f64 v[30:31], v[30:31], -0.5, v[4:5]
	v_add_f64 v[4:5], v[4:5], v[34:35]
	ds_write_b64 v37, v[2:3] offset:144
	v_add_f64 v[2:3], v[32:33], v[20:21]
	v_add_f64 v[34:35], v[34:35], -v[50:51]
	v_fma_f64 v[44:45], v[44:45], -0.5, v[12:13]
	v_add_f64 v[12:13], v[18:19], v[42:43]
	v_add_f64 v[4:5], v[4:5], v[50:51]
	v_fma_f64 v[2:3], v[2:3], -0.5, v[6:7]
	v_add_f64 v[6:7], v[6:7], v[32:33]
	v_fma_f64 v[46:47], v[12:13], -0.5, v[14:15]
	v_add_f64 v[12:13], v[18:19], -v[42:43]
	v_mul_u32_u24_e32 v14, 0xd8, v56
	v_lshlrev_b32_e32 v15, 3, v57
	v_add3_u32 v58, 0, v14, v15
	v_add_f64 v[18:19], v[16:17], -v[28:29]
	v_add_f64 v[56:57], v[10:11], v[16:17]
	v_add_f64 v[42:43], v[54:55], v[42:43]
	v_fma_f64 v[14:15], v[12:13], s[4:5], v[30:31]
	v_fma_f64 v[12:13], v[12:13], s[6:7], v[30:31]
	v_add_f64 v[30:31], v[16:17], v[28:29]
	v_add_f64 v[28:29], v[56:57], v[28:29]
	ds_write2_b64 v58, v[4:5], v[14:15] offset1:9
	v_add_f64 v[4:5], v[6:7], v[20:21]
	v_fma_f64 v[6:7], v[18:19], s[4:5], v[2:3]
	v_fma_f64 v[2:3], v[18:19], s[6:7], v[2:3]
	v_add_f64 v[18:19], v[8:9], v[40:41]
	v_add_f64 v[40:41], v[52:53], -v[48:49]
	v_fma_f64 v[30:31], v[30:31], -0.5, v[10:11]
	v_add_f64 v[20:21], v[32:33], -v[20:21]
	v_mul_u32_u24_e32 v10, 0xd8, v60
	v_lshlrev_b32_e32 v11, 3, v61
	v_add3_u32 v59, 0, v10, v11
	ds_write_b64 v58, v[12:13] offset:144
	ds_write2_b64 v59, v[4:5], v[6:7] offset1:9
	v_fma_f64 v[32:33], v[40:41], s[6:7], v[44:45]
	v_fma_f64 v[40:41], v[40:41], s[4:5], v[44:45]
	;; [unrolled: 1-line block ×6, first 2 shown]
	ds_write_b64 v59, v[2:3] offset:144
	s_waitcnt lgkmcnt(0)
	s_barrier
	ds_read_b64 v[48:49], v24 offset:15552
	ds_read2_b64 v[2:5], v24 offset1:243
	ds_read2_b64 v[6:9], v25 offset0:6 offset1:249
	ds_read2_b64 v[10:13], v27 offset0:2 offset1:245
	;; [unrolled: 1-line block ×3, first 2 shown]
	s_waitcnt lgkmcnt(0)
	s_barrier
	ds_write2_b64 v37, v[18:19], v[32:33] offset1:9
	ds_write_b64 v37, v[40:41] offset:144
	ds_write2_b64 v58, v[42:43], v[44:45] offset1:9
	ds_write_b64 v58, v[34:35] offset:144
	;; [unrolled: 2-line block ×3, first 2 shown]
	v_mov_b32_e32 v18, 19
	v_mul_lo_u16_sdwa v18, v36, v18 dst_sel:DWORD dst_unused:UNUSED_PAD src0_sel:BYTE_0 src1_sel:DWORD
	v_lshrrev_b16_e32 v37, 9, v18
	v_mul_lo_u16_e32 v18, 27, v37
	v_sub_u16_e32 v56, v36, v18
	v_lshlrev_b32_sdwa v44, v0, v56 dst_sel:DWORD dst_unused:UNUSED_PAD src0_sel:DWORD src1_sel:BYTE_0
	s_waitcnt lgkmcnt(0)
	s_barrier
	global_load_dwordx4 v[18:21], v44, s[8:9] offset:400
	v_mul_u32_u24_sdwa v28, v23, s10 dst_sel:DWORD dst_unused:UNUSED_PAD src0_sel:WORD_0 src1_sel:DWORD
	v_sub_u16_sdwa v29, v23, v28 dst_sel:DWORD dst_unused:UNUSED_PAD src0_sel:DWORD src1_sel:WORD_1
	v_lshrrev_b16_e32 v29, 1, v29
	v_add_u16_sdwa v28, v29, v28 dst_sel:DWORD dst_unused:UNUSED_PAD src0_sel:DWORD src1_sel:WORD_1
	v_lshrrev_b16_e32 v57, 4, v28
	v_mul_lo_u16_e32 v28, 27, v57
	v_sub_u16_e32 v58, v23, v28
	v_lshlrev_b32_e32 v40, 5, v58
	global_load_dwordx4 v[28:31], v40, s[8:9] offset:400
	global_load_dwordx4 v[32:35], v40, s[8:9] offset:384
	ds_read2_b64 v[40:43], v27 offset0:2 offset1:245
	global_load_dwordx4 v[44:47], v44, s[8:9] offset:384
	s_waitcnt vmcnt(3) lgkmcnt(0)
	v_mul_f64 v[50:51], v[40:41], v[20:21]
	v_mul_f64 v[20:21], v[10:11], v[20:21]
	s_waitcnt vmcnt(2)
	v_mul_f64 v[52:53], v[42:43], v[30:31]
	v_fma_f64 v[50:51], v[10:11], v[18:19], -v[50:51]
	v_fma_f64 v[40:41], v[40:41], v[18:19], v[20:21]
	v_mul_f64 v[18:19], v[12:13], v[30:31]
	v_mul_u32_u24_sdwa v10, v22, s10 dst_sel:DWORD dst_unused:UNUSED_PAD src0_sel:WORD_0 src1_sel:DWORD
	v_sub_u16_sdwa v11, v22, v10 dst_sel:DWORD dst_unused:UNUSED_PAD src0_sel:DWORD src1_sel:WORD_1
	v_lshrrev_b16_e32 v11, 1, v11
	v_add_u16_sdwa v10, v11, v10 dst_sel:DWORD dst_unused:UNUSED_PAD src0_sel:DWORD src1_sel:WORD_1
	v_lshrrev_b16_e32 v59, 4, v10
	v_mul_lo_u16_e32 v10, 27, v59
	v_sub_u16_e32 v60, v22, v10
	v_lshlrev_b32_e32 v54, 5, v60
	v_fma_f64 v[52:53], v[12:13], v[28:29], -v[52:53]
	global_load_dwordx4 v[10:13], v54, s[8:9] offset:384
	v_fma_f64 v[42:43], v[42:43], v[28:29], v[18:19]
	ds_read2_b64 v[18:21], v26 offset0:12 offset1:255
	s_waitcnt vmcnt(2)
	v_mul_f64 v[30:31], v[14:15], v[34:35]
	s_movk_i32 s10, 0xcb
	s_waitcnt lgkmcnt(0)
	v_mul_f64 v[28:29], v[18:19], v[34:35]
	v_fma_f64 v[18:19], v[18:19], v[32:33], v[30:31]
	v_fma_f64 v[34:35], v[14:15], v[32:33], -v[28:29]
	global_load_dwordx4 v[28:31], v54, s[8:9] offset:400
	s_waitcnt vmcnt(1)
	v_mul_f64 v[14:15], v[20:21], v[12:13]
	v_mul_f64 v[12:13], v[16:17], v[12:13]
	v_fma_f64 v[32:33], v[16:17], v[10:11], -v[14:15]
	ds_read_b64 v[14:15], v24 offset:15552
	v_fma_f64 v[16:17], v[20:21], v[10:11], v[12:13]
	ds_read2_b64 v[10:13], v25 offset0:6 offset1:249
	s_waitcnt vmcnt(0) lgkmcnt(1)
	v_mul_f64 v[20:21], v[14:15], v[30:31]
	s_waitcnt lgkmcnt(0)
	v_mul_f64 v[54:55], v[12:13], v[46:47]
	v_mul_f64 v[30:31], v[48:49], v[30:31]
	v_fma_f64 v[20:21], v[48:49], v[28:29], -v[20:21]
	v_fma_f64 v[48:49], v[8:9], v[44:45], -v[54:55]
	v_mul_f64 v[8:9], v[8:9], v[46:47]
	v_fma_f64 v[28:29], v[14:15], v[28:29], v[30:31]
	v_add_f64 v[30:31], v[48:49], v[50:51]
	v_fma_f64 v[8:9], v[12:13], v[44:45], v[8:9]
	v_add_f64 v[14:15], v[2:3], v[48:49]
	v_mul_u32_u24_e32 v12, 0x288, v37
	v_lshlrev_b32_sdwa v13, v1, v56 dst_sel:DWORD dst_unused:UNUSED_PAD src0_sel:DWORD src1_sel:BYTE_0
	v_add3_u32 v37, 0, v12, v13
	v_fma_f64 v[2:3], v[30:31], -0.5, v[2:3]
	v_add_f64 v[30:31], v[8:9], -v[40:41]
	v_add_f64 v[44:45], v[14:15], v[50:51]
	ds_read2_b64 v[12:15], v24 offset1:243
	s_waitcnt lgkmcnt(0)
	s_barrier
	v_add_f64 v[54:55], v[14:15], v[18:19]
	v_fma_f64 v[46:47], v[30:31], s[4:5], v[2:3]
	v_fma_f64 v[2:3], v[30:31], s[6:7], v[2:3]
	v_add_f64 v[30:31], v[34:35], v[52:53]
	ds_write2_b64 v37, v[44:45], v[46:47] offset1:27
	v_add_f64 v[44:45], v[8:9], v[40:41]
	v_add_f64 v[8:9], v[12:13], v[8:9]
	v_fma_f64 v[30:31], v[30:31], -0.5, v[4:5]
	v_add_f64 v[4:5], v[4:5], v[34:35]
	ds_write_b64 v37, v[2:3] offset:432
	v_add_f64 v[2:3], v[32:33], v[20:21]
	v_add_f64 v[34:35], v[34:35], -v[52:53]
	v_fma_f64 v[44:45], v[44:45], -0.5, v[12:13]
	v_add_f64 v[12:13], v[18:19], v[42:43]
	v_add_f64 v[4:5], v[4:5], v[52:53]
	v_fma_f64 v[2:3], v[2:3], -0.5, v[6:7]
	v_add_f64 v[6:7], v[6:7], v[32:33]
	v_fma_f64 v[46:47], v[12:13], -0.5, v[14:15]
	v_add_f64 v[12:13], v[18:19], -v[42:43]
	v_mul_u32_u24_e32 v14, 0x288, v57
	v_lshlrev_b32_e32 v15, 3, v58
	v_add3_u32 v58, 0, v14, v15
	v_add_f64 v[18:19], v[16:17], -v[28:29]
	v_add_f64 v[56:57], v[10:11], v[16:17]
	v_add_f64 v[42:43], v[54:55], v[42:43]
	v_fma_f64 v[14:15], v[12:13], s[4:5], v[30:31]
	v_fma_f64 v[12:13], v[12:13], s[6:7], v[30:31]
	v_add_f64 v[30:31], v[16:17], v[28:29]
	v_add_f64 v[28:29], v[56:57], v[28:29]
	ds_write2_b64 v58, v[4:5], v[14:15] offset1:27
	v_add_f64 v[4:5], v[6:7], v[20:21]
	v_fma_f64 v[6:7], v[18:19], s[4:5], v[2:3]
	v_fma_f64 v[2:3], v[18:19], s[6:7], v[2:3]
	v_add_f64 v[18:19], v[8:9], v[40:41]
	v_add_f64 v[40:41], v[48:49], -v[50:51]
	v_fma_f64 v[30:31], v[30:31], -0.5, v[10:11]
	v_add_f64 v[20:21], v[32:33], -v[20:21]
	v_mul_u32_u24_e32 v10, 0x288, v59
	v_lshlrev_b32_e32 v11, 3, v60
	v_add3_u32 v59, 0, v10, v11
	ds_write_b64 v58, v[12:13] offset:432
	ds_write2_b64 v59, v[4:5], v[6:7] offset1:27
	v_fma_f64 v[32:33], v[40:41], s[6:7], v[44:45]
	v_fma_f64 v[40:41], v[40:41], s[4:5], v[44:45]
	;; [unrolled: 1-line block ×6, first 2 shown]
	ds_write_b64 v59, v[2:3] offset:432
	s_waitcnt lgkmcnt(0)
	s_barrier
	ds_read_b64 v[48:49], v24 offset:15552
	ds_read2_b64 v[2:5], v24 offset1:243
	ds_read2_b64 v[6:9], v25 offset0:6 offset1:249
	ds_read2_b64 v[10:13], v27 offset0:2 offset1:245
	ds_read2_b64 v[14:17], v26 offset0:12 offset1:255
	s_waitcnt lgkmcnt(0)
	s_barrier
	ds_write2_b64 v37, v[18:19], v[32:33] offset1:27
	ds_write_b64 v37, v[40:41] offset:432
	ds_write2_b64 v58, v[42:43], v[44:45] offset1:27
	ds_write_b64 v58, v[34:35] offset:432
	;; [unrolled: 2-line block ×3, first 2 shown]
	v_mul_lo_u16_sdwa v18, v36, s10 dst_sel:DWORD dst_unused:UNUSED_PAD src0_sel:BYTE_0 src1_sel:DWORD
	v_lshrrev_b16_e32 v37, 14, v18
	v_mul_lo_u16_e32 v18, 0x51, v37
	v_sub_u16_e32 v54, v36, v18
	v_lshlrev_b32_sdwa v0, v0, v54 dst_sel:DWORD dst_unused:UNUSED_PAD src0_sel:DWORD src1_sel:BYTE_0
	s_waitcnt lgkmcnt(0)
	s_barrier
	global_load_dwordx4 v[18:21], v0, s[8:9] offset:1264
	s_movk_i32 s10, 0x6523
	v_mul_u32_u24_sdwa v28, v23, s10 dst_sel:DWORD dst_unused:UNUSED_PAD src0_sel:WORD_0 src1_sel:DWORD
	v_lshrrev_b32_e32 v55, 21, v28
	v_mul_lo_u16_e32 v28, 0x51, v55
	v_sub_u16_e32 v56, v23, v28
	v_lshlrev_b32_e32 v40, 5, v56
	global_load_dwordx4 v[28:31], v40, s[8:9] offset:1264
	global_load_dwordx4 v[32:35], v40, s[8:9] offset:1248
	ds_read2_b64 v[40:43], v27 offset0:2 offset1:245
	global_load_dwordx4 v[44:47], v0, s[8:9] offset:1248
	v_mul_u32_u24_sdwa v0, v22, s10 dst_sel:DWORD dst_unused:UNUSED_PAD src0_sel:WORD_0 src1_sel:DWORD
	v_lshrrev_b32_e32 v57, 21, v0
	v_mul_lo_u16_e32 v0, 0x51, v57
	v_sub_u16_e32 v58, v22, v0
	v_lshlrev_b32_e32 v0, 5, v58
	s_movk_i32 s10, 0xdb3
	s_waitcnt vmcnt(3) lgkmcnt(0)
	v_mul_f64 v[50:51], v[40:41], v[20:21]
	v_mul_f64 v[20:21], v[10:11], v[20:21]
	v_fma_f64 v[50:51], v[10:11], v[18:19], -v[50:51]
	v_fma_f64 v[40:41], v[40:41], v[18:19], v[20:21]
	global_load_dwordx4 v[18:21], v0, s[8:9] offset:1248
	s_waitcnt vmcnt(3)
	v_mul_f64 v[10:11], v[42:43], v[30:31]
	v_fma_f64 v[52:53], v[12:13], v[28:29], -v[10:11]
	v_mul_f64 v[10:11], v[12:13], v[30:31]
	s_waitcnt vmcnt(2)
	v_mul_f64 v[30:31], v[14:15], v[34:35]
	v_fma_f64 v[42:43], v[42:43], v[28:29], v[10:11]
	ds_read2_b64 v[10:13], v26 offset0:12 offset1:255
	s_waitcnt lgkmcnt(0)
	v_mul_f64 v[28:29], v[10:11], v[34:35]
	v_fma_f64 v[14:15], v[14:15], v[32:33], -v[28:29]
	v_fma_f64 v[32:33], v[10:11], v[32:33], v[30:31]
	global_load_dwordx4 v[28:31], v0, s[8:9] offset:1264
	v_lshlrev_b32_sdwa v0, v1, v54 dst_sel:DWORD dst_unused:UNUSED_PAD src0_sel:DWORD src1_sel:BYTE_0
	v_mul_u32_u24_e32 v1, 0x798, v37
	v_add3_u32 v37, 0, v1, v0
	v_mul_u32_u24_e32 v54, 0x798, v55
	v_lshlrev_b32_e32 v55, 3, v56
	v_add3_u32 v56, 0, v54, v55
	s_waitcnt vmcnt(1)
	v_mul_f64 v[10:11], v[12:13], v[20:21]
	v_fma_f64 v[34:35], v[16:17], v[18:19], -v[10:11]
	v_mul_f64 v[10:11], v[16:17], v[20:21]
	v_mul_f64 v[20:21], v[8:9], v[46:47]
	v_fma_f64 v[16:17], v[12:13], v[18:19], v[10:11]
	ds_read2_b64 v[10:13], v25 offset0:6 offset1:249
	s_waitcnt lgkmcnt(0)
	v_mul_f64 v[18:19], v[12:13], v[46:47]
	ds_read_b64 v[46:47], v24 offset:15552
	v_fma_f64 v[12:13], v[12:13], v[44:45], v[20:21]
	v_fma_f64 v[8:9], v[8:9], v[44:45], -v[18:19]
	v_add_f64 v[44:45], v[12:13], -v[40:41]
	s_waitcnt vmcnt(0) lgkmcnt(0)
	v_mul_f64 v[18:19], v[46:47], v[30:31]
	v_mul_f64 v[20:21], v[48:49], v[30:31]
	v_add_f64 v[30:31], v[8:9], v[50:51]
	v_fma_f64 v[18:19], v[48:49], v[28:29], -v[18:19]
	v_fma_f64 v[20:21], v[46:47], v[28:29], v[20:21]
	v_add_f64 v[28:29], v[2:3], v[8:9]
	v_fma_f64 v[30:31], v[30:31], -0.5, v[2:3]
	ds_read2_b64 v[0:3], v24 offset1:243
	s_waitcnt lgkmcnt(0)
	s_barrier
	v_add_f64 v[28:29], v[28:29], v[50:51]
	v_add_f64 v[48:49], v[2:3], v[32:33]
	v_fma_f64 v[46:47], v[44:45], s[4:5], v[30:31]
	v_fma_f64 v[30:31], v[44:45], s[6:7], v[30:31]
	v_add_f64 v[44:45], v[12:13], v[40:41]
	v_add_f64 v[12:13], v[0:1], v[12:13]
	ds_write2_b64 v37, v[28:29], v[46:47] offset1:81
	v_add_f64 v[28:29], v[14:15], v[52:53]
	v_add_f64 v[46:47], v[32:33], v[42:43]
	v_fma_f64 v[44:45], v[44:45], -0.5, v[0:1]
	v_add_f64 v[0:1], v[32:33], -v[42:43]
	ds_write_b64 v37, v[30:31] offset:1296
	v_add_f64 v[32:33], v[16:17], v[20:21]
	v_add_f64 v[42:43], v[48:49], v[42:43]
	v_fma_f64 v[28:29], v[28:29], -0.5, v[4:5]
	v_add_f64 v[4:5], v[4:5], v[14:15]
	v_fma_f64 v[46:47], v[46:47], -0.5, v[2:3]
	v_add_f64 v[2:3], v[34:35], v[18:19]
	v_fma_f64 v[30:31], v[0:1], s[4:5], v[28:29]
	v_add_f64 v[4:5], v[4:5], v[52:53]
	v_fma_f64 v[0:1], v[0:1], s[6:7], v[28:29]
	v_fma_f64 v[2:3], v[2:3], -0.5, v[6:7]
	v_add_f64 v[6:7], v[6:7], v[34:35]
	v_add_f64 v[28:29], v[16:17], -v[20:21]
	v_add_f64 v[16:17], v[10:11], v[16:17]
	ds_write2_b64 v56, v[4:5], v[30:31] offset1:81
	v_fma_f64 v[30:31], v[32:33], -0.5, v[10:11]
	v_add_f64 v[32:33], v[8:9], -v[50:51]
	v_add_f64 v[4:5], v[6:7], v[18:19]
	v_fma_f64 v[6:7], v[28:29], s[4:5], v[2:3]
	v_fma_f64 v[2:3], v[28:29], s[6:7], v[2:3]
	v_add_f64 v[28:29], v[12:13], v[40:41]
	v_add_f64 v[40:41], v[14:15], -v[52:53]
	v_add_f64 v[18:19], v[34:35], -v[18:19]
	v_add_f64 v[16:17], v[16:17], v[20:21]
	v_fma_f64 v[34:35], v[32:33], s[6:7], v[44:45]
	v_fma_f64 v[32:33], v[32:33], s[4:5], v[44:45]
	ds_write_b64 v56, v[0:1] offset:1296
	v_mul_u32_u24_e32 v0, 0x798, v57
	v_lshlrev_b32_e32 v1, 3, v58
	v_fma_f64 v[44:45], v[40:41], s[6:7], v[46:47]
	v_fma_f64 v[40:41], v[40:41], s[4:5], v[46:47]
	;; [unrolled: 1-line block ×4, first 2 shown]
	v_add3_u32 v57, 0, v0, v1
	ds_write2_b64 v57, v[4:5], v[6:7] offset1:81
	ds_write_b64 v57, v[2:3] offset:1296
	s_waitcnt lgkmcnt(0)
	s_barrier
	ds_read_b64 v[54:55], v24 offset:15552
	ds_read2_b64 v[0:3], v24 offset1:243
	ds_read2_b64 v[4:7], v25 offset0:6 offset1:249
	ds_read2_b64 v[8:11], v27 offset0:2 offset1:245
	;; [unrolled: 1-line block ×3, first 2 shown]
	s_waitcnt lgkmcnt(0)
	s_barrier
	ds_write2_b64 v37, v[28:29], v[34:35] offset1:81
	ds_write_b64 v37, v[32:33] offset:1296
	ds_write2_b64 v56, v[42:43], v[44:45] offset1:81
	ds_write_b64 v56, v[40:41] offset:1296
	;; [unrolled: 2-line block ×3, first 2 shown]
	v_lshlrev_b32_e32 v16, 1, v36
	v_mov_b32_e32 v17, 0
	v_lshlrev_b64 v[18:19], 4, v[16:17]
	v_mov_b32_e32 v16, s9
	v_add_co_u32_e32 v18, vcc, s8, v18
	v_addc_co_u32_e32 v19, vcc, v16, v19, vcc
	s_waitcnt lgkmcnt(0)
	s_barrier
	global_load_dwordx4 v[28:31], v[18:19], off offset:3856
	v_mul_u32_u24_sdwa v16, v22, s10 dst_sel:DWORD dst_unused:UNUSED_PAD src0_sel:WORD_0 src1_sel:DWORD
	v_sub_u16_sdwa v20, v22, v16 dst_sel:DWORD dst_unused:UNUSED_PAD src0_sel:DWORD src1_sel:WORD_1
	v_lshrrev_b16_e32 v20, 1, v20
	v_add_u16_sdwa v16, v20, v16 dst_sel:DWORD dst_unused:UNUSED_PAD src0_sel:DWORD src1_sel:WORD_1
	v_lshrrev_b16_e32 v16, 7, v16
	v_mul_lo_u16_e32 v16, 0xf3, v16
	v_sub_u16_e32 v16, v22, v16
	v_lshlrev_b32_e32 v20, 5, v16
	global_load_dwordx4 v[32:35], v20, s[8:9] offset:3840
	global_load_dwordx4 v[40:43], v[18:19], off offset:3840
	global_load_dwordx4 v[44:47], v20, s[8:9] offset:3856
	ds_read2_b64 v[48:51], v27 offset0:2 offset1:245
	v_lshl_add_u32 v16, v16, 3, 0
	v_add_u32_e32 v37, 0x2d80, v16
	s_waitcnt vmcnt(3) lgkmcnt(0)
	v_mul_f64 v[20:21], v[48:49], v[30:31]
	v_mul_f64 v[52:53], v[50:51], v[30:31]
	;; [unrolled: 1-line block ×4, first 2 shown]
	v_fma_f64 v[20:21], v[8:9], v[28:29], -v[20:21]
	v_fma_f64 v[52:53], v[10:11], v[28:29], -v[52:53]
	ds_read2_b64 v[8:11], v26 offset0:12 offset1:255
	v_fma_f64 v[48:49], v[48:49], v[28:29], v[56:57]
	v_fma_f64 v[50:51], v[50:51], v[28:29], v[30:31]
	s_waitcnt vmcnt(2)
	v_mul_f64 v[30:31], v[14:15], v[34:35]
	s_waitcnt lgkmcnt(0)
	v_mul_f64 v[28:29], v[10:11], v[34:35]
	s_waitcnt vmcnt(1)
	v_mul_f64 v[34:35], v[8:9], v[42:43]
	v_fma_f64 v[10:11], v[10:11], v[32:33], v[30:31]
	v_fma_f64 v[56:57], v[14:15], v[32:33], -v[28:29]
	ds_read2_b64 v[28:31], v25 offset0:6 offset1:249
	v_mul_f64 v[14:15], v[12:13], v[42:43]
	v_fma_f64 v[12:13], v[12:13], v[40:41], -v[34:35]
	ds_read_b64 v[34:35], v24 offset:15552
	s_waitcnt lgkmcnt(1)
	v_mul_f64 v[32:33], v[30:31], v[42:43]
	v_fma_f64 v[14:15], v[8:9], v[40:41], v[14:15]
	v_mul_f64 v[8:9], v[6:7], v[42:43]
	v_fma_f64 v[32:33], v[6:7], v[40:41], -v[32:33]
	s_waitcnt vmcnt(0) lgkmcnt(0)
	v_mul_f64 v[6:7], v[34:35], v[46:47]
	v_fma_f64 v[30:31], v[30:31], v[40:41], v[8:9]
	v_mul_f64 v[8:9], v[54:55], v[46:47]
	v_add_f64 v[40:41], v[32:33], v[20:21]
	v_fma_f64 v[42:43], v[54:55], v[44:45], -v[6:7]
	v_add_f64 v[6:7], v[0:1], v[32:33]
	v_add_f64 v[32:33], v[32:33], -v[20:21]
	v_fma_f64 v[34:35], v[34:35], v[44:45], v[8:9]
	v_fma_f64 v[0:1], v[40:41], -0.5, v[0:1]
	v_add_f64 v[40:41], v[30:31], -v[48:49]
	v_add_f64 v[44:45], v[6:7], v[20:21]
	ds_read2_b64 v[6:9], v24 offset1:243
	s_waitcnt lgkmcnt(0)
	s_barrier
	v_add_f64 v[54:55], v[10:11], -v[34:35]
	v_add_f64 v[58:59], v[8:9], v[14:15]
	v_fma_f64 v[46:47], v[40:41], s[4:5], v[0:1]
	v_fma_f64 v[0:1], v[40:41], s[6:7], v[0:1]
	v_add_f64 v[40:41], v[12:13], v[52:53]
	ds_write2_b64 v24, v[44:45], v[46:47] offset1:243
	v_add_f64 v[44:45], v[2:3], v[12:13]
	v_fma_f64 v[2:3], v[40:41], -0.5, v[2:3]
	v_add_f64 v[40:41], v[14:15], -v[50:51]
	v_add_f64 v[44:45], v[44:45], v[52:53]
	v_fma_f64 v[46:47], v[40:41], s[4:5], v[2:3]
	v_fma_f64 v[2:3], v[40:41], s[6:7], v[2:3]
	v_add_f64 v[40:41], v[14:15], v[50:51]
	ds_write2_b64 v25, v[0:1], v[44:45] offset0:6 offset1:249
	v_add_f64 v[0:1], v[56:57], v[42:43]
	v_add_f64 v[44:45], v[30:31], v[48:49]
	;; [unrolled: 1-line block ×3, first 2 shown]
	v_fma_f64 v[40:41], v[40:41], -0.5, v[8:9]
	ds_write2_b64 v26, v[46:47], v[2:3] offset0:12 offset1:255
	v_fma_f64 v[0:1], v[0:1], -0.5, v[4:5]
	v_add_f64 v[4:5], v[4:5], v[56:57]
	v_fma_f64 v[44:45], v[44:45], -0.5, v[6:7]
	v_add_f64 v[6:7], v[10:11], v[34:35]
	v_add_f64 v[30:31], v[30:31], v[48:49]
	v_add_f64 v[48:49], v[12:13], -v[52:53]
	v_fma_f64 v[8:9], v[54:55], s[4:5], v[0:1]
	v_add_f64 v[4:5], v[4:5], v[42:43]
	v_fma_f64 v[0:1], v[54:55], s[6:7], v[0:1]
	v_fma_f64 v[46:47], v[6:7], -0.5, v[28:29]
	v_add_f64 v[28:29], v[28:29], v[10:11]
	v_add_f64 v[42:43], v[56:57], -v[42:43]
	v_fma_f64 v[52:53], v[32:33], s[6:7], v[44:45]
	v_fma_f64 v[32:33], v[32:33], s[4:5], v[44:45]
	v_add_f64 v[44:45], v[58:59], v[50:51]
	v_fma_f64 v[50:51], v[48:49], s[6:7], v[40:41]
	v_fma_f64 v[40:41], v[48:49], s[4:5], v[40:41]
	ds_write2_b64 v37, v[4:5], v[8:9] offset0:2 offset1:245
	ds_write_b64 v16, v[0:1] offset:15552
	s_waitcnt lgkmcnt(0)
	s_barrier
	ds_read_b64 v[20:21], v24 offset:15552
	ds_read2_b64 v[0:3], v24 offset1:243
	ds_read2_b64 v[4:7], v25 offset0:6 offset1:249
	ds_read2_b64 v[12:15], v27 offset0:2 offset1:245
	;; [unrolled: 1-line block ×3, first 2 shown]
	v_add_f64 v[28:29], v[28:29], v[34:35]
	v_fma_f64 v[34:35], v[42:43], s[6:7], v[46:47]
	v_fma_f64 v[42:43], v[42:43], s[4:5], v[46:47]
	s_waitcnt lgkmcnt(0)
	s_barrier
	ds_write2_b64 v24, v[30:31], v[52:53] offset1:243
	ds_write2_b64 v25, v[32:33], v[44:45] offset0:6 offset1:249
	ds_write2_b64 v26, v[50:51], v[40:41] offset0:12 offset1:255
	ds_write2_b64 v37, v[28:29], v[34:35] offset0:2 offset1:245
	ds_write_b64 v16, v[42:43] offset:15552
	s_waitcnt lgkmcnt(0)
	s_barrier
	s_and_saveexec_b64 s[10:11], s[0:1]
	s_cbranch_execz .LBB0_13
; %bb.12:
	s_movk_i32 s0, 0x2d60
	v_add_co_u32_e32 v28, vcc, s0, v18
	v_addc_co_u32_e32 v29, vcc, 0, v19, vcc
	v_lshlrev_b32_e32 v16, 1, v22
	global_load_dwordx4 v[28:31], v[28:29], off offset:16
	v_lshlrev_b64 v[48:49], 4, v[16:17]
	v_lshlrev_b32_e32 v16, 1, v23
	v_lshlrev_b64 v[32:33], 4, v[16:17]
	v_mov_b32_e32 v37, s9
	v_add_co_u32_e32 v16, vcc, s8, v32
	v_addc_co_u32_e32 v23, vcc, v37, v33, vcc
	v_add_co_u32_e32 v32, vcc, s0, v16
	v_addc_co_u32_e32 v33, vcc, 0, v23, vcc
	global_load_dwordx4 v[32:35], v[32:33], off offset:16
	s_movk_i32 s9, 0x2000
	v_add_co_u32_e32 v18, vcc, s9, v18
	v_addc_co_u32_e32 v19, vcc, 0, v19, vcc
	global_load_dwordx4 v[40:43], v[18:19], off offset:3424
	v_add_co_u32_e32 v18, vcc, s9, v16
	v_addc_co_u32_e32 v19, vcc, 0, v23, vcc
	global_load_dwordx4 v[44:47], v[18:19], off offset:3424
	v_add_co_u32_e32 v16, vcc, s8, v48
	v_addc_co_u32_e32 v19, vcc, v37, v49, vcc
	v_add_co_u32_e32 v18, vcc, 0x2d60, v16
	s_mov_b64 s[0:1], vcc
	v_add_co_u32_e32 v48, vcc, 0x2000, v16
	v_addc_co_u32_e32 v49, vcc, 0, v19, vcc
	global_load_dwordx4 v[48:51], v[48:49], off offset:3424
	v_addc_co_u32_e64 v19, vcc, 0, v19, s[0:1]
	global_load_dwordx4 v[52:55], v[18:19], off offset:16
	ds_read2_b64 v[56:59], v27 offset0:2 offset1:245
	v_mov_b32_e32 v37, v17
	v_mov_b32_e32 v16, s3
	v_add_co_u32_e32 v38, vcc, s2, v38
	v_addc_co_u32_e32 v39, vcc, v16, v39, vcc
	s_movk_i32 s0, 0x5000
	s_mov_b32 s1, 0x59e60383
	s_waitcnt vmcnt(5) lgkmcnt(0)
	v_mul_f64 v[18:19], v[56:57], v[30:31]
	v_mul_f64 v[30:31], v[12:13], v[30:31]
	v_fma_f64 v[18:19], v[12:13], v[28:29], -v[18:19]
	v_fma_f64 v[29:30], v[28:29], v[56:57], v[30:31]
	s_waitcnt vmcnt(4)
	v_mul_f64 v[12:13], v[58:59], v[34:35]
	v_mul_f64 v[27:28], v[14:15], v[34:35]
	v_fma_f64 v[34:35], v[14:15], v[32:33], -v[12:13]
	ds_read2_b64 v[12:15], v25 offset0:6 offset1:249
	v_fma_f64 v[31:32], v[32:33], v[58:59], v[27:28]
	ds_read2_b64 v[25:28], v26 offset0:12 offset1:255
	s_waitcnt vmcnt(3) lgkmcnt(1)
	v_mul_f64 v[56:57], v[14:15], v[42:43]
	v_mul_f64 v[42:43], v[6:7], v[42:43]
	s_waitcnt vmcnt(2) lgkmcnt(0)
	v_mul_f64 v[58:59], v[25:26], v[46:47]
	v_fma_f64 v[56:57], v[6:7], v[40:41], -v[56:57]
	v_mul_f64 v[6:7], v[8:9], v[46:47]
	v_fma_f64 v[14:15], v[40:41], v[14:15], v[42:43]
	s_waitcnt vmcnt(1)
	v_mul_f64 v[40:41], v[27:28], v[50:51]
	v_fma_f64 v[42:43], v[8:9], v[44:45], -v[58:59]
	s_waitcnt vmcnt(0)
	v_mul_f64 v[46:47], v[20:21], v[54:55]
	v_fma_f64 v[25:26], v[44:45], v[25:26], v[6:7]
	ds_read_b64 v[44:45], v24 offset:15552
	v_mul_f64 v[6:7], v[10:11], v[50:51]
	v_fma_f64 v[10:11], v[10:11], v[48:49], -v[40:41]
	v_add_f64 v[50:51], v[56:57], v[18:19]
	s_waitcnt lgkmcnt(0)
	v_mul_f64 v[40:41], v[44:45], v[54:55]
	v_add_f64 v[54:55], v[42:43], -v[34:35]
	v_fma_f64 v[27:28], v[48:49], v[27:28], v[6:7]
	ds_read2_b64 v[6:9], v24 offset1:243
	v_add_f64 v[48:49], v[14:15], v[29:30]
	v_fma_f64 v[50:51], v[50:51], -0.5, v[0:1]
	v_fma_f64 v[23:24], v[20:21], v[52:53], -v[40:41]
	v_fma_f64 v[40:41], v[52:53], v[44:45], v[46:47]
	v_add_f64 v[44:45], v[0:1], v[56:57]
	s_waitcnt lgkmcnt(0)
	v_add_f64 v[20:21], v[14:15], v[6:7]
	v_add_f64 v[52:53], v[14:15], -v[29:30]
	v_add_f64 v[14:15], v[25:26], v[31:32]
	v_add_f64 v[46:47], v[56:57], -v[18:19]
	v_add_f64 v[56:57], v[25:26], -v[31:32]
	v_add_f64 v[58:59], v[4:5], v[10:11]
	v_add_f64 v[62:63], v[27:28], -v[40:41]
	v_add_f64 v[18:19], v[44:45], v[18:19]
	v_add_f64 v[44:45], v[42:43], v[34:35]
	;; [unrolled: 1-line block ×5, first 2 shown]
	v_fma_f64 v[42:43], v[48:49], -0.5, v[6:7]
	v_fma_f64 v[48:49], v[14:15], -0.5, v[8:9]
	v_add_f64 v[6:7], v[27:28], v[40:41]
	v_add_f64 v[8:9], v[27:28], v[12:13]
	;; [unrolled: 1-line block ×3, first 2 shown]
	v_fma_f64 v[44:45], v[44:45], -0.5, v[2:3]
	v_add_f64 v[2:3], v[31:32], v[29:30]
	v_add_f64 v[60:61], v[10:11], -v[23:24]
	v_add_f64 v[0:1], v[25:26], v[34:35]
	v_fma_f64 v[10:11], v[46:47], s[4:5], v[42:43]
	v_fma_f64 v[31:32], v[6:7], -0.5, v[12:13]
	v_add_f64 v[6:7], v[40:41], v[8:9]
	v_fma_f64 v[40:41], v[14:15], -0.5, v[4:5]
	v_fma_f64 v[14:15], v[46:47], s[6:7], v[42:43]
	v_fma_f64 v[12:13], v[52:53], s[4:5], v[50:51]
	v_fma_f64 v[8:9], v[52:53], s[6:7], v[50:51]
	v_lshlrev_b64 v[35:36], 4, v[36:37]
	v_fma_f64 v[29:30], v[54:55], s[6:7], v[48:49]
	v_fma_f64 v[27:28], v[56:57], s[4:5], v[44:45]
	v_add_co_u32_e32 v35, vcc, v38, v35
	v_addc_co_u32_e32 v36, vcc, v39, v36, vcc
	v_add_f64 v[4:5], v[58:59], v[23:24]
	v_fma_f64 v[25:26], v[54:55], s[4:5], v[48:49]
	v_fma_f64 v[23:24], v[56:57], s[6:7], v[44:45]
	global_store_dwordx4 v[35:36], v[18:21], off
	v_fma_f64 v[33:34], v[60:61], s[4:5], v[31:32]
	v_add_co_u32_e32 v18, vcc, s9, v35
	v_addc_co_u32_e32 v19, vcc, 0, v36, vcc
	global_store_dwordx4 v[18:19], v[12:15], off offset:3472
	v_fma_f64 v[42:43], v[60:61], s[6:7], v[31:32]
	v_add_co_u32_e32 v12, vcc, s0, v35
	v_addc_co_u32_e32 v13, vcc, 0, v36, vcc
	s_movk_i32 s0, 0x3000
	global_store_dwordx4 v[12:13], v[8:11], off offset:2848
	global_store_dwordx4 v[35:36], v[0:3], off offset:3888
	v_fma_f64 v[31:32], v[62:63], s[6:7], v[40:41]
	v_add_co_u32_e32 v0, vcc, s0, v35
	v_mul_hi_u32 v2, v22, s1
	v_addc_co_u32_e32 v1, vcc, 0, v36, vcc
	s_movk_i32 s0, 0x6000
	global_store_dwordx4 v[0:1], v[27:30], off offset:3264
	v_add_co_u32_e32 v0, vcc, s0, v35
	v_addc_co_u32_e32 v1, vcc, 0, v36, vcc
	global_store_dwordx4 v[0:1], v[23:26], off offset:2640
	v_lshrrev_b32_e32 v0, 8, v2
	s_movk_i32 s0, 0x5b2
	v_mad_u32_u24 v16, v0, s0, v22
	v_fma_f64 v[40:41], v[62:63], s[4:5], v[40:41]
	v_lshlrev_b64 v[0:1], 4, v[16:17]
	v_add_co_u32_e32 v0, vcc, v38, v0
	v_addc_co_u32_e32 v1, vcc, v39, v1, vcc
	v_add_co_u32_e32 v2, vcc, 0x2000, v0
	v_addc_co_u32_e32 v3, vcc, 0, v1, vcc
	global_store_dwordx4 v[0:1], v[4:7], off
	v_add_co_u32_e32 v0, vcc, 0x5000, v0
	v_addc_co_u32_e32 v1, vcc, 0, v1, vcc
	global_store_dwordx4 v[2:3], v[40:43], off offset:3472
	global_store_dwordx4 v[0:1], v[31:34], off offset:2848
.LBB0_13:
	s_endpgm
	.section	.rodata,"a",@progbits
	.p2align	6, 0x0
	.amdhsa_kernel fft_rtc_fwd_len2187_factors_3_3_3_3_3_3_3_wgs_243_tpt_243_halfLds_dp_ip_CI_unitstride_sbrr_dirReg
		.amdhsa_group_segment_fixed_size 0
		.amdhsa_private_segment_fixed_size 0
		.amdhsa_kernarg_size 88
		.amdhsa_user_sgpr_count 6
		.amdhsa_user_sgpr_private_segment_buffer 1
		.amdhsa_user_sgpr_dispatch_ptr 0
		.amdhsa_user_sgpr_queue_ptr 0
		.amdhsa_user_sgpr_kernarg_segment_ptr 1
		.amdhsa_user_sgpr_dispatch_id 0
		.amdhsa_user_sgpr_flat_scratch_init 0
		.amdhsa_user_sgpr_private_segment_size 0
		.amdhsa_uses_dynamic_stack 0
		.amdhsa_system_sgpr_private_segment_wavefront_offset 0
		.amdhsa_system_sgpr_workgroup_id_x 1
		.amdhsa_system_sgpr_workgroup_id_y 0
		.amdhsa_system_sgpr_workgroup_id_z 0
		.amdhsa_system_sgpr_workgroup_info 0
		.amdhsa_system_vgpr_workitem_id 0
		.amdhsa_next_free_vgpr 64
		.amdhsa_next_free_sgpr 22
		.amdhsa_reserve_vcc 1
		.amdhsa_reserve_flat_scratch 0
		.amdhsa_float_round_mode_32 0
		.amdhsa_float_round_mode_16_64 0
		.amdhsa_float_denorm_mode_32 3
		.amdhsa_float_denorm_mode_16_64 3
		.amdhsa_dx10_clamp 1
		.amdhsa_ieee_mode 1
		.amdhsa_fp16_overflow 0
		.amdhsa_exception_fp_ieee_invalid_op 0
		.amdhsa_exception_fp_denorm_src 0
		.amdhsa_exception_fp_ieee_div_zero 0
		.amdhsa_exception_fp_ieee_overflow 0
		.amdhsa_exception_fp_ieee_underflow 0
		.amdhsa_exception_fp_ieee_inexact 0
		.amdhsa_exception_int_div_zero 0
	.end_amdhsa_kernel
	.text
.Lfunc_end0:
	.size	fft_rtc_fwd_len2187_factors_3_3_3_3_3_3_3_wgs_243_tpt_243_halfLds_dp_ip_CI_unitstride_sbrr_dirReg, .Lfunc_end0-fft_rtc_fwd_len2187_factors_3_3_3_3_3_3_3_wgs_243_tpt_243_halfLds_dp_ip_CI_unitstride_sbrr_dirReg
                                        ; -- End function
	.section	.AMDGPU.csdata,"",@progbits
; Kernel info:
; codeLenInByte = 7696
; NumSgprs: 26
; NumVgprs: 64
; ScratchSize: 0
; MemoryBound: 1
; FloatMode: 240
; IeeeMode: 1
; LDSByteSize: 0 bytes/workgroup (compile time only)
; SGPRBlocks: 3
; VGPRBlocks: 15
; NumSGPRsForWavesPerEU: 26
; NumVGPRsForWavesPerEU: 64
; Occupancy: 4
; WaveLimiterHint : 1
; COMPUTE_PGM_RSRC2:SCRATCH_EN: 0
; COMPUTE_PGM_RSRC2:USER_SGPR: 6
; COMPUTE_PGM_RSRC2:TRAP_HANDLER: 0
; COMPUTE_PGM_RSRC2:TGID_X_EN: 1
; COMPUTE_PGM_RSRC2:TGID_Y_EN: 0
; COMPUTE_PGM_RSRC2:TGID_Z_EN: 0
; COMPUTE_PGM_RSRC2:TIDIG_COMP_CNT: 0
	.type	__hip_cuid_9da132863cc057bb,@object ; @__hip_cuid_9da132863cc057bb
	.section	.bss,"aw",@nobits
	.globl	__hip_cuid_9da132863cc057bb
__hip_cuid_9da132863cc057bb:
	.byte	0                               ; 0x0
	.size	__hip_cuid_9da132863cc057bb, 1

	.ident	"AMD clang version 19.0.0git (https://github.com/RadeonOpenCompute/llvm-project roc-6.4.0 25133 c7fe45cf4b819c5991fe208aaa96edf142730f1d)"
	.section	".note.GNU-stack","",@progbits
	.addrsig
	.addrsig_sym __hip_cuid_9da132863cc057bb
	.amdgpu_metadata
---
amdhsa.kernels:
  - .args:
      - .actual_access:  read_only
        .address_space:  global
        .offset:         0
        .size:           8
        .value_kind:     global_buffer
      - .offset:         8
        .size:           8
        .value_kind:     by_value
      - .actual_access:  read_only
        .address_space:  global
        .offset:         16
        .size:           8
        .value_kind:     global_buffer
      - .actual_access:  read_only
        .address_space:  global
        .offset:         24
        .size:           8
        .value_kind:     global_buffer
      - .offset:         32
        .size:           8
        .value_kind:     by_value
      - .actual_access:  read_only
        .address_space:  global
        .offset:         40
        .size:           8
        .value_kind:     global_buffer
      - .actual_access:  read_only
        .address_space:  global
        .offset:         48
        .size:           8
        .value_kind:     global_buffer
      - .offset:         56
        .size:           4
        .value_kind:     by_value
      - .actual_access:  read_only
        .address_space:  global
        .offset:         64
        .size:           8
        .value_kind:     global_buffer
      - .actual_access:  read_only
        .address_space:  global
        .offset:         72
        .size:           8
        .value_kind:     global_buffer
      - .address_space:  global
        .offset:         80
        .size:           8
        .value_kind:     global_buffer
    .group_segment_fixed_size: 0
    .kernarg_segment_align: 8
    .kernarg_segment_size: 88
    .language:       OpenCL C
    .language_version:
      - 2
      - 0
    .max_flat_workgroup_size: 243
    .name:           fft_rtc_fwd_len2187_factors_3_3_3_3_3_3_3_wgs_243_tpt_243_halfLds_dp_ip_CI_unitstride_sbrr_dirReg
    .private_segment_fixed_size: 0
    .sgpr_count:     26
    .sgpr_spill_count: 0
    .symbol:         fft_rtc_fwd_len2187_factors_3_3_3_3_3_3_3_wgs_243_tpt_243_halfLds_dp_ip_CI_unitstride_sbrr_dirReg.kd
    .uniform_work_group_size: 1
    .uses_dynamic_stack: false
    .vgpr_count:     64
    .vgpr_spill_count: 0
    .wavefront_size: 64
amdhsa.target:   amdgcn-amd-amdhsa--gfx906
amdhsa.version:
  - 1
  - 2
...

	.end_amdgpu_metadata
